;; amdgpu-corpus repo=zjin-lcf/HeCBench kind=compiled arch=gfx1030 opt=O3
	.amdgcn_target "amdgcn-amd-amdhsa--gfx1030"
	.amdhsa_code_object_version 6
	.text
	.protected	_Z8sumArrayfiPKfPf      ; -- Begin function _Z8sumArrayfiPKfPf
	.globl	_Z8sumArrayfiPKfPf
	.p2align	8
	.type	_Z8sumArrayfiPKfPf,@function
_Z8sumArrayfiPKfPf:                     ; @_Z8sumArrayfiPKfPf
; %bb.0:
	s_clause 0x1
	s_load_dword s2, s[4:5], 0x24
	s_load_dwordx2 s[8:9], s[4:5], 0x0
	s_add_u32 s0, s4, 24
	s_addc_u32 s1, s5, 0
	s_waitcnt lgkmcnt(0)
	s_and_b32 s7, s2, 0xffff
	s_mov_b32 s2, exec_lo
	v_mad_u64_u32 v[0:1], null, s6, s7, v[0:1]
	v_cmpx_gt_i32_e64 s9, v0
	s_cbranch_execz .LBB0_9
; %bb.1:
	s_load_dword s6, s[0:1], 0x0
	s_load_dwordx4 s[0:3], s[4:5], 0x8
	v_mov_b32_e32 v3, 0
	s_mov_b32 s5, 0
	s_waitcnt lgkmcnt(0)
	s_mul_i32 s4, s6, s7
	s_inst_prefetch 0x1
	s_branch .LBB0_3
	.p2align	6
.LBB0_2:                                ;   in Loop: Header=BB0_3 Depth=1
	s_or_b32 exec_lo, exec_lo, s6
	v_add_nc_u32_e32 v0, s4, v0
	v_cmp_le_i32_e32 vcc_lo, s9, v0
	s_or_b32 s5, vcc_lo, s5
	s_andn2_b32 exec_lo, exec_lo, s5
	s_cbranch_execz .LBB0_9
.LBB0_3:                                ; =>This Loop Header: Depth=1
                                        ;     Child Loop BB0_4 Depth 2
                                        ;     Child Loop BB0_7 Depth 2
	v_ashrrev_i32_e32 v1, 31, v0
	v_bfrev_b32_e32 v4, 1
	s_mov_b32 s6, exec_lo
	v_lshlrev_b64 v[1:2], 2, v[0:1]
	v_add_co_u32 v1, vcc_lo, s0, v1
	v_add_co_ci_u32_e64 v2, null, s1, v2, vcc_lo
	global_load_dword v1, v[1:2], off
	s_waitcnt vmcnt(0)
	v_add_f32_e32 v1, s8, v1
	v_subrev_f32_e32 v1, s8, v1
.LBB0_4:                                ;   Parent Loop BB0_3 Depth=1
                                        ; =>  This Inner Loop Header: Depth=2
	s_ff1_i32_b32 s7, s6
	v_readlane_b32 s10, v1, s7
	s_lshl_b32 s7, 1, s7
	s_andn2_b32 s6, s6, s7
	s_cmp_lg_u32 s6, 0
	v_add_f32_e32 v4, s10, v4
	s_cbranch_scc1 .LBB0_4
; %bb.5:                                ;   in Loop: Header=BB0_3 Depth=1
	v_mbcnt_lo_u32_b32 v1, exec_lo, 0
	s_mov_b32 s6, exec_lo
	v_cmpx_eq_u32_e32 0, v1
	s_xor_b32 s6, exec_lo, s6
	s_cbranch_execz .LBB0_2
; %bb.6:                                ;   in Loop: Header=BB0_3 Depth=1
	global_load_dword v2, v3, s[2:3]
	s_mov_b32 s7, 0
.LBB0_7:                                ;   Parent Loop BB0_3 Depth=1
                                        ; =>  This Inner Loop Header: Depth=2
	s_waitcnt vmcnt(0)
	v_add_f32_e32 v1, v2, v4
	global_atomic_cmpswap v1, v3, v[1:2], s[2:3] glc
	s_waitcnt vmcnt(0)
	v_cmp_eq_u32_e32 vcc_lo, v1, v2
	v_mov_b32_e32 v2, v1
	s_or_b32 s7, vcc_lo, s7
	s_andn2_b32 exec_lo, exec_lo, s7
	s_cbranch_execnz .LBB0_7
; %bb.8:                                ;   in Loop: Header=BB0_3 Depth=1
	s_or_b32 exec_lo, exec_lo, s7
	s_branch .LBB0_2
.LBB0_9:
	s_inst_prefetch 0x2
	s_endpgm
	.section	.rodata,"a",@progbits
	.p2align	6, 0x0
	.amdhsa_kernel _Z8sumArrayfiPKfPf
		.amdhsa_group_segment_fixed_size 0
		.amdhsa_private_segment_fixed_size 0
		.amdhsa_kernarg_size 280
		.amdhsa_user_sgpr_count 6
		.amdhsa_user_sgpr_private_segment_buffer 1
		.amdhsa_user_sgpr_dispatch_ptr 0
		.amdhsa_user_sgpr_queue_ptr 0
		.amdhsa_user_sgpr_kernarg_segment_ptr 1
		.amdhsa_user_sgpr_dispatch_id 0
		.amdhsa_user_sgpr_flat_scratch_init 0
		.amdhsa_user_sgpr_private_segment_size 0
		.amdhsa_wavefront_size32 1
		.amdhsa_uses_dynamic_stack 0
		.amdhsa_system_sgpr_private_segment_wavefront_offset 0
		.amdhsa_system_sgpr_workgroup_id_x 1
		.amdhsa_system_sgpr_workgroup_id_y 0
		.amdhsa_system_sgpr_workgroup_id_z 0
		.amdhsa_system_sgpr_workgroup_info 0
		.amdhsa_system_vgpr_workitem_id 0
		.amdhsa_next_free_vgpr 5
		.amdhsa_next_free_sgpr 11
		.amdhsa_reserve_vcc 1
		.amdhsa_reserve_flat_scratch 0
		.amdhsa_float_round_mode_32 0
		.amdhsa_float_round_mode_16_64 0
		.amdhsa_float_denorm_mode_32 3
		.amdhsa_float_denorm_mode_16_64 3
		.amdhsa_dx10_clamp 1
		.amdhsa_ieee_mode 1
		.amdhsa_fp16_overflow 0
		.amdhsa_workgroup_processor_mode 1
		.amdhsa_memory_ordered 1
		.amdhsa_forward_progress 1
		.amdhsa_shared_vgpr_count 0
		.amdhsa_exception_fp_ieee_invalid_op 0
		.amdhsa_exception_fp_denorm_src 0
		.amdhsa_exception_fp_ieee_div_zero 0
		.amdhsa_exception_fp_ieee_overflow 0
		.amdhsa_exception_fp_ieee_underflow 0
		.amdhsa_exception_fp_ieee_inexact 0
		.amdhsa_exception_int_div_zero 0
	.end_amdhsa_kernel
	.text
.Lfunc_end0:
	.size	_Z8sumArrayfiPKfPf, .Lfunc_end0-_Z8sumArrayfiPKfPf
                                        ; -- End function
	.set _Z8sumArrayfiPKfPf.num_vgpr, 5
	.set _Z8sumArrayfiPKfPf.num_agpr, 0
	.set _Z8sumArrayfiPKfPf.numbered_sgpr, 11
	.set _Z8sumArrayfiPKfPf.num_named_barrier, 0
	.set _Z8sumArrayfiPKfPf.private_seg_size, 0
	.set _Z8sumArrayfiPKfPf.uses_vcc, 1
	.set _Z8sumArrayfiPKfPf.uses_flat_scratch, 0
	.set _Z8sumArrayfiPKfPf.has_dyn_sized_stack, 0
	.set _Z8sumArrayfiPKfPf.has_recursion, 0
	.set _Z8sumArrayfiPKfPf.has_indirect_call, 0
	.section	.AMDGPU.csdata,"",@progbits
; Kernel info:
; codeLenInByte = 332
; TotalNumSgprs: 13
; NumVgprs: 5
; ScratchSize: 0
; MemoryBound: 0
; FloatMode: 240
; IeeeMode: 1
; LDSByteSize: 0 bytes/workgroup (compile time only)
; SGPRBlocks: 0
; VGPRBlocks: 0
; NumSGPRsForWavesPerEU: 13
; NumVGPRsForWavesPerEU: 5
; Occupancy: 16
; WaveLimiterHint : 0
; COMPUTE_PGM_RSRC2:SCRATCH_EN: 0
; COMPUTE_PGM_RSRC2:USER_SGPR: 6
; COMPUTE_PGM_RSRC2:TRAP_HANDLER: 0
; COMPUTE_PGM_RSRC2:TGID_X_EN: 1
; COMPUTE_PGM_RSRC2:TGID_Y_EN: 0
; COMPUTE_PGM_RSRC2:TGID_Z_EN: 0
; COMPUTE_PGM_RSRC2:TIDIG_COMP_CNT: 0
	.text
	.protected	_Z9sumArraysiiPKfPfS0_  ; -- Begin function _Z9sumArraysiiPKfPfS0_
	.globl	_Z9sumArraysiiPKfPfS0_
	.p2align	8
	.type	_Z9sumArraysiiPKfPfS0_,@function
_Z9sumArraysiiPKfPfS0_:                 ; @_Z9sumArraysiiPKfPfS0_
; %bb.0:
	s_clause 0x1
	s_load_dword s2, s[4:5], 0x2c
	s_load_dwordx2 s[8:9], s[4:5], 0x0
	s_add_u32 s0, s4, 32
	s_addc_u32 s1, s5, 0
	s_waitcnt lgkmcnt(0)
	s_and_b32 s10, s2, 0xffff
	s_mov_b32 s2, exec_lo
	v_mad_u64_u32 v[0:1], null, s6, s10, v[0:1]
	v_cmpx_gt_i32_e64 s8, v0
	s_cbranch_execz .LBB1_7
; %bb.1:
	s_load_dword s13, s[0:1], 0x0
	s_clause 0x1
	s_load_dwordx4 s[0:3], s[4:5], 0x8
	s_load_dwordx2 s[4:5], s[4:5], 0x18
	v_cvt_f32_i32_e32 v10, s9
	v_mov_b32_e32 v1, 1.0
	v_mul_lo_u32 v2, s9, v0
	s_cmp_gt_i32 s9, 0
	s_mov_b32 s7, 0
	v_add_f32_e32 v3, v10, v10
	s_cselect_b32 s12, -1, 0
	s_add_i32 s6, s9, -1
	v_fmamk_f32 v11, v3, 0xb4000000, v1
	s_waitcnt lgkmcnt(0)
	s_mul_i32 s13, s13, s10
	v_mov_b32_e32 v5, s1
	v_mov_b32_e32 v4, s0
	s_add_i32 s1, s9, 1
	s_lshl_b64 s[10:11], s[6:7], 2
	s_mul_i32 s6, s13, s9
	s_branch .LBB1_4
.LBB1_2:                                ;   in Loop: Header=BB1_4 Depth=1
	v_mov_b32_e32 v1, 0
.LBB1_3:                                ;   in Loop: Header=BB1_4 Depth=1
	v_mul_lo_u32 v8, v0, s9
	v_add_nc_u32_e32 v0, s13, v0
	v_add_co_u32 v6, vcc_lo, s2, v6
	v_add_co_ci_u32_e64 v7, null, s3, v7, vcc_lo
	v_cmp_le_i32_e32 vcc_lo, s8, v0
	v_add_nc_u32_e32 v2, s6, v2
	v_ashrrev_i32_e32 v9, 31, v8
	global_store_dword v[6:7], v1, off
	s_or_b32 s7, vcc_lo, s7
	v_lshlrev_b64 v[8:9], 2, v[8:9]
	v_add_co_u32 v4, s0, v4, v8
	v_add_co_ci_u32_e64 v5, null, v5, v9, s0
	s_andn2_b32 exec_lo, exec_lo, s7
	s_cbranch_execz .LBB1_7
.LBB1_4:                                ; =>This Loop Header: Depth=1
                                        ;     Child Loop BB1_6 Depth 2
	v_ashrrev_i32_e32 v1, 31, v0
	s_andn2_b32 vcc_lo, exec_lo, s12
	v_lshlrev_b64 v[6:7], 2, v[0:1]
	s_cbranch_vccnz .LBB1_2
; %bb.5:                                ;   in Loop: Header=BB1_4 Depth=1
	v_add_co_u32 v8, vcc_lo, s4, v6
	v_add_co_ci_u32_e64 v9, null, s5, v7, vcc_lo
	s_mov_b32 s0, s1
	global_load_dword v1, v[8:9], off
	s_waitcnt vmcnt(0)
	v_mul_f32_e32 v1, v1, v10
	v_div_scale_f32 v3, null, v11, v11, v1
	v_div_scale_f32 v12, vcc_lo, v1, v11, v1
	v_rcp_f32_e32 v8, v3
	v_fma_f32 v9, -v3, v8, 1.0
	v_fmac_f32_e32 v8, v9, v8
	v_mul_f32_e32 v9, v12, v8
	v_fma_f32 v13, -v3, v9, v12
	v_fmac_f32_e32 v9, v13, v8
	v_fma_f32 v12, -v3, v9, v12
	v_ashrrev_i32_e32 v3, 31, v2
	v_div_fmas_f32 v12, v12, v8, v9
	v_lshlrev_b64 v[8:9], 2, v[2:3]
	v_add_co_u32 v3, vcc_lo, v4, s10
	v_div_fixup_f32 v1, v12, v11, v1
	v_add_co_ci_u32_e64 v12, null, s11, v5, vcc_lo
	v_add_co_u32 v8, vcc_lo, v3, v8
	v_frexp_exp_i32_f32_e32 v1, v1
	v_add_co_ci_u32_e64 v9, null, v12, v9, vcc_lo
	v_ldexp_f32 v3, 1.0, v1
	v_mov_b32_e32 v1, 0
.LBB1_6:                                ;   Parent Loop BB1_4 Depth=1
                                        ; =>  This Inner Loop Header: Depth=2
	global_load_dword v12, v[8:9], off
	v_add_co_u32 v8, vcc_lo, v8, -4
	v_add_co_ci_u32_e64 v9, null, -1, v9, vcc_lo
	s_add_i32 s0, s0, -1
	s_cmp_lt_u32 s0, 2
	s_waitcnt vmcnt(0)
	v_add_f32_e32 v12, v3, v12
	v_sub_f32_e32 v12, v12, v3
	v_add_f32_e32 v1, v1, v12
	s_cbranch_scc0 .LBB1_6
	s_branch .LBB1_3
.LBB1_7:
	s_endpgm
	.section	.rodata,"a",@progbits
	.p2align	6, 0x0
	.amdhsa_kernel _Z9sumArraysiiPKfPfS0_
		.amdhsa_group_segment_fixed_size 0
		.amdhsa_private_segment_fixed_size 0
		.amdhsa_kernarg_size 288
		.amdhsa_user_sgpr_count 6
		.amdhsa_user_sgpr_private_segment_buffer 1
		.amdhsa_user_sgpr_dispatch_ptr 0
		.amdhsa_user_sgpr_queue_ptr 0
		.amdhsa_user_sgpr_kernarg_segment_ptr 1
		.amdhsa_user_sgpr_dispatch_id 0
		.amdhsa_user_sgpr_flat_scratch_init 0
		.amdhsa_user_sgpr_private_segment_size 0
		.amdhsa_wavefront_size32 1
		.amdhsa_uses_dynamic_stack 0
		.amdhsa_system_sgpr_private_segment_wavefront_offset 0
		.amdhsa_system_sgpr_workgroup_id_x 1
		.amdhsa_system_sgpr_workgroup_id_y 0
		.amdhsa_system_sgpr_workgroup_id_z 0
		.amdhsa_system_sgpr_workgroup_info 0
		.amdhsa_system_vgpr_workitem_id 0
		.amdhsa_next_free_vgpr 14
		.amdhsa_next_free_sgpr 14
		.amdhsa_reserve_vcc 1
		.amdhsa_reserve_flat_scratch 0
		.amdhsa_float_round_mode_32 0
		.amdhsa_float_round_mode_16_64 0
		.amdhsa_float_denorm_mode_32 3
		.amdhsa_float_denorm_mode_16_64 3
		.amdhsa_dx10_clamp 1
		.amdhsa_ieee_mode 1
		.amdhsa_fp16_overflow 0
		.amdhsa_workgroup_processor_mode 1
		.amdhsa_memory_ordered 1
		.amdhsa_forward_progress 1
		.amdhsa_shared_vgpr_count 0
		.amdhsa_exception_fp_ieee_invalid_op 0
		.amdhsa_exception_fp_denorm_src 0
		.amdhsa_exception_fp_ieee_div_zero 0
		.amdhsa_exception_fp_ieee_overflow 0
		.amdhsa_exception_fp_ieee_underflow 0
		.amdhsa_exception_fp_ieee_inexact 0
		.amdhsa_exception_int_div_zero 0
	.end_amdhsa_kernel
	.text
.Lfunc_end1:
	.size	_Z9sumArraysiiPKfPfS0_, .Lfunc_end1-_Z9sumArraysiiPKfPfS0_
                                        ; -- End function
	.set _Z9sumArraysiiPKfPfS0_.num_vgpr, 14
	.set _Z9sumArraysiiPKfPfS0_.num_agpr, 0
	.set _Z9sumArraysiiPKfPfS0_.numbered_sgpr, 14
	.set _Z9sumArraysiiPKfPfS0_.num_named_barrier, 0
	.set _Z9sumArraysiiPKfPfS0_.private_seg_size, 0
	.set _Z9sumArraysiiPKfPfS0_.uses_vcc, 1
	.set _Z9sumArraysiiPKfPfS0_.uses_flat_scratch, 0
	.set _Z9sumArraysiiPKfPfS0_.has_dyn_sized_stack, 0
	.set _Z9sumArraysiiPKfPfS0_.has_recursion, 0
	.set _Z9sumArraysiiPKfPfS0_.has_indirect_call, 0
	.section	.AMDGPU.csdata,"",@progbits
; Kernel info:
; codeLenInByte = 504
; TotalNumSgprs: 16
; NumVgprs: 14
; ScratchSize: 0
; MemoryBound: 0
; FloatMode: 240
; IeeeMode: 1
; LDSByteSize: 0 bytes/workgroup (compile time only)
; SGPRBlocks: 0
; VGPRBlocks: 1
; NumSGPRsForWavesPerEU: 16
; NumVGPRsForWavesPerEU: 14
; Occupancy: 16
; WaveLimiterHint : 0
; COMPUTE_PGM_RSRC2:SCRATCH_EN: 0
; COMPUTE_PGM_RSRC2:USER_SGPR: 6
; COMPUTE_PGM_RSRC2:TRAP_HANDLER: 0
; COMPUTE_PGM_RSRC2:TGID_X_EN: 1
; COMPUTE_PGM_RSRC2:TGID_Y_EN: 0
; COMPUTE_PGM_RSRC2:TGID_Z_EN: 0
; COMPUTE_PGM_RSRC2:TIDIG_COMP_CNT: 0
	.text
	.p2alignl 6, 3214868480
	.fill 48, 4, 3214868480
	.section	.AMDGPU.gpr_maximums,"",@progbits
	.set amdgpu.max_num_vgpr, 0
	.set amdgpu.max_num_agpr, 0
	.set amdgpu.max_num_sgpr, 0
	.text
	.type	__hip_cuid_f61d33820c52fc6b,@object ; @__hip_cuid_f61d33820c52fc6b
	.section	.bss,"aw",@nobits
	.globl	__hip_cuid_f61d33820c52fc6b
__hip_cuid_f61d33820c52fc6b:
	.byte	0                               ; 0x0
	.size	__hip_cuid_f61d33820c52fc6b, 1

	.ident	"AMD clang version 22.0.0git (https://github.com/RadeonOpenCompute/llvm-project roc-7.2.4 26084 f58b06dce1f9c15707c5f808fd002e18c2accf7e)"
	.section	".note.GNU-stack","",@progbits
	.addrsig
	.addrsig_sym __hip_cuid_f61d33820c52fc6b
	.amdgpu_metadata
---
amdhsa.kernels:
  - .args:
      - .offset:         0
        .size:           4
        .value_kind:     by_value
      - .offset:         4
        .size:           4
        .value_kind:     by_value
      - .actual_access:  read_only
        .address_space:  global
        .offset:         8
        .size:           8
        .value_kind:     global_buffer
      - .address_space:  global
        .offset:         16
        .size:           8
        .value_kind:     global_buffer
      - .offset:         24
        .size:           4
        .value_kind:     hidden_block_count_x
      - .offset:         28
        .size:           4
        .value_kind:     hidden_block_count_y
      - .offset:         32
        .size:           4
        .value_kind:     hidden_block_count_z
      - .offset:         36
        .size:           2
        .value_kind:     hidden_group_size_x
      - .offset:         38
        .size:           2
        .value_kind:     hidden_group_size_y
      - .offset:         40
        .size:           2
        .value_kind:     hidden_group_size_z
      - .offset:         42
        .size:           2
        .value_kind:     hidden_remainder_x
      - .offset:         44
        .size:           2
        .value_kind:     hidden_remainder_y
      - .offset:         46
        .size:           2
        .value_kind:     hidden_remainder_z
      - .offset:         64
        .size:           8
        .value_kind:     hidden_global_offset_x
      - .offset:         72
        .size:           8
        .value_kind:     hidden_global_offset_y
      - .offset:         80
        .size:           8
        .value_kind:     hidden_global_offset_z
      - .offset:         88
        .size:           2
        .value_kind:     hidden_grid_dims
    .group_segment_fixed_size: 0
    .kernarg_segment_align: 8
    .kernarg_segment_size: 280
    .language:       OpenCL C
    .language_version:
      - 2
      - 0
    .max_flat_workgroup_size: 1024
    .name:           _Z8sumArrayfiPKfPf
    .private_segment_fixed_size: 0
    .sgpr_count:     13
    .sgpr_spill_count: 0
    .symbol:         _Z8sumArrayfiPKfPf.kd
    .uniform_work_group_size: 1
    .uses_dynamic_stack: false
    .vgpr_count:     5
    .vgpr_spill_count: 0
    .wavefront_size: 32
    .workgroup_processor_mode: 1
  - .args:
      - .offset:         0
        .size:           4
        .value_kind:     by_value
      - .offset:         4
        .size:           4
        .value_kind:     by_value
      - .actual_access:  read_only
        .address_space:  global
        .offset:         8
        .size:           8
        .value_kind:     global_buffer
      - .actual_access:  write_only
        .address_space:  global
        .offset:         16
        .size:           8
        .value_kind:     global_buffer
      - .actual_access:  read_only
        .address_space:  global
        .offset:         24
        .size:           8
        .value_kind:     global_buffer
      - .offset:         32
        .size:           4
        .value_kind:     hidden_block_count_x
      - .offset:         36
        .size:           4
        .value_kind:     hidden_block_count_y
      - .offset:         40
        .size:           4
        .value_kind:     hidden_block_count_z
      - .offset:         44
        .size:           2
        .value_kind:     hidden_group_size_x
      - .offset:         46
        .size:           2
        .value_kind:     hidden_group_size_y
      - .offset:         48
        .size:           2
        .value_kind:     hidden_group_size_z
      - .offset:         50
        .size:           2
        .value_kind:     hidden_remainder_x
      - .offset:         52
        .size:           2
        .value_kind:     hidden_remainder_y
      - .offset:         54
        .size:           2
        .value_kind:     hidden_remainder_z
      - .offset:         72
        .size:           8
        .value_kind:     hidden_global_offset_x
      - .offset:         80
        .size:           8
        .value_kind:     hidden_global_offset_y
      - .offset:         88
        .size:           8
        .value_kind:     hidden_global_offset_z
      - .offset:         96
        .size:           2
        .value_kind:     hidden_grid_dims
    .group_segment_fixed_size: 0
    .kernarg_segment_align: 8
    .kernarg_segment_size: 288
    .language:       OpenCL C
    .language_version:
      - 2
      - 0
    .max_flat_workgroup_size: 1024
    .name:           _Z9sumArraysiiPKfPfS0_
    .private_segment_fixed_size: 0
    .sgpr_count:     16
    .sgpr_spill_count: 0
    .symbol:         _Z9sumArraysiiPKfPfS0_.kd
    .uniform_work_group_size: 1
    .uses_dynamic_stack: false
    .vgpr_count:     14
    .vgpr_spill_count: 0
    .wavefront_size: 32
    .workgroup_processor_mode: 1
amdhsa.target:   amdgcn-amd-amdhsa--gfx1030
amdhsa.version:
  - 1
  - 2
...

	.end_amdgpu_metadata
